;; amdgpu-corpus repo=ROCm/rocFFT kind=compiled arch=gfx1201 opt=O3
	.text
	.amdgcn_target "amdgcn-amd-amdhsa--gfx1201"
	.amdhsa_code_object_version 6
	.protected	fft_rtc_back_len25_factors_5_5_wgs_255_tpt_5_halfLds_half_op_CI_CI_sbrr_dirReg ; -- Begin function fft_rtc_back_len25_factors_5_5_wgs_255_tpt_5_halfLds_half_op_CI_CI_sbrr_dirReg
	.globl	fft_rtc_back_len25_factors_5_5_wgs_255_tpt_5_halfLds_half_op_CI_CI_sbrr_dirReg
	.p2align	8
	.type	fft_rtc_back_len25_factors_5_5_wgs_255_tpt_5_halfLds_half_op_CI_CI_sbrr_dirReg,@function
fft_rtc_back_len25_factors_5_5_wgs_255_tpt_5_halfLds_half_op_CI_CI_sbrr_dirReg: ; @fft_rtc_back_len25_factors_5_5_wgs_255_tpt_5_halfLds_half_op_CI_CI_sbrr_dirReg
; %bb.0:
	s_clause 0x1
	s_load_b128 s[12:15], s[0:1], 0x18
	s_load_b128 s[8:11], s[0:1], 0x0
	v_mul_u32_u24_e32 v1, 0x3334, v0
	v_mov_b32_e32 v9, 0
	v_mov_b32_e32 v7, 0
	v_mov_b32_e32 v8, 0
	s_load_b128 s[4:7], s[0:1], 0x58
	s_wait_kmcnt 0x0
	s_load_b64 s[18:19], s[12:13], 0x0
	s_load_b64 s[16:17], s[14:15], 0x0
	v_lshrrev_b32_e32 v1, 16, v1
	v_cmp_lt_u64_e64 s2, s[10:11], 2
	s_delay_alu instid0(VALU_DEP_2) | instskip(SKIP_2) | instid1(VALU_DEP_4)
	v_mad_co_u64_u32 v[3:4], null, ttmp9, 51, v[1:2]
	v_dual_mov_b32 v4, v9 :: v_dual_mov_b32 v1, v7
	v_mov_b32_e32 v2, v8
	s_and_b32 vcc_lo, exec_lo, s2
	s_delay_alu instid0(VALU_DEP_2)
	v_dual_mov_b32 v6, v4 :: v_dual_mov_b32 v5, v3
	s_cbranch_vccnz .LBB0_8
; %bb.1:
	s_load_b64 s[2:3], s[0:1], 0x10
	v_dual_mov_b32 v7, 0 :: v_dual_mov_b32 v12, v4
	v_dual_mov_b32 v8, 0 :: v_dual_mov_b32 v11, v3
	s_delay_alu instid0(VALU_DEP_2) | instskip(SKIP_2) | instid1(VALU_DEP_2)
	v_mov_b32_e32 v1, v7
	s_add_nc_u64 s[20:21], s[14:15], 8
	s_add_nc_u64 s[22:23], s[12:13], 8
	v_mov_b32_e32 v2, v8
	s_mov_b64 s[24:25], 1
	s_wait_kmcnt 0x0
	s_add_nc_u64 s[26:27], s[2:3], 8
	s_mov_b32 s3, 0
.LBB0_2:                                ; =>This Inner Loop Header: Depth=1
	s_load_b64 s[28:29], s[26:27], 0x0
                                        ; implicit-def: $vgpr5_vgpr6
	s_mov_b32 s2, exec_lo
	s_wait_kmcnt 0x0
	v_or_b32_e32 v10, s29, v12
	s_delay_alu instid0(VALU_DEP_1)
	v_cmpx_ne_u64_e32 0, v[9:10]
	s_wait_alu 0xfffe
	s_xor_b32 s30, exec_lo, s2
	s_cbranch_execz .LBB0_4
; %bb.3:                                ;   in Loop: Header=BB0_2 Depth=1
	s_cvt_f32_u32 s2, s28
	s_cvt_f32_u32 s31, s29
	s_sub_nc_u64 s[36:37], 0, s[28:29]
	s_wait_alu 0xfffe
	s_delay_alu instid0(SALU_CYCLE_1) | instskip(SKIP_1) | instid1(SALU_CYCLE_2)
	s_fmamk_f32 s2, s31, 0x4f800000, s2
	s_wait_alu 0xfffe
	v_s_rcp_f32 s2, s2
	s_delay_alu instid0(TRANS32_DEP_1) | instskip(SKIP_1) | instid1(SALU_CYCLE_2)
	s_mul_f32 s2, s2, 0x5f7ffffc
	s_wait_alu 0xfffe
	s_mul_f32 s31, s2, 0x2f800000
	s_wait_alu 0xfffe
	s_delay_alu instid0(SALU_CYCLE_2) | instskip(SKIP_1) | instid1(SALU_CYCLE_2)
	s_trunc_f32 s31, s31
	s_wait_alu 0xfffe
	s_fmamk_f32 s2, s31, 0xcf800000, s2
	s_cvt_u32_f32 s35, s31
	s_wait_alu 0xfffe
	s_delay_alu instid0(SALU_CYCLE_1) | instskip(SKIP_1) | instid1(SALU_CYCLE_2)
	s_cvt_u32_f32 s34, s2
	s_wait_alu 0xfffe
	s_mul_u64 s[38:39], s[36:37], s[34:35]
	s_wait_alu 0xfffe
	s_mul_hi_u32 s41, s34, s39
	s_mul_i32 s40, s34, s39
	s_mul_hi_u32 s2, s34, s38
	s_mul_i32 s33, s35, s38
	s_wait_alu 0xfffe
	s_add_nc_u64 s[40:41], s[2:3], s[40:41]
	s_mul_hi_u32 s31, s35, s38
	s_mul_hi_u32 s42, s35, s39
	s_add_co_u32 s2, s40, s33
	s_wait_alu 0xfffe
	s_add_co_ci_u32 s2, s41, s31
	s_mul_i32 s38, s35, s39
	s_add_co_ci_u32 s39, s42, 0
	s_wait_alu 0xfffe
	s_add_nc_u64 s[38:39], s[2:3], s[38:39]
	s_wait_alu 0xfffe
	v_add_co_u32 v4, s2, s34, s38
	s_delay_alu instid0(VALU_DEP_1) | instskip(SKIP_1) | instid1(VALU_DEP_1)
	s_cmp_lg_u32 s2, 0
	s_add_co_ci_u32 s35, s35, s39
	v_readfirstlane_b32 s34, v4
	s_wait_alu 0xfffe
	s_delay_alu instid0(VALU_DEP_1)
	s_mul_u64 s[36:37], s[36:37], s[34:35]
	s_wait_alu 0xfffe
	s_mul_hi_u32 s39, s34, s37
	s_mul_i32 s38, s34, s37
	s_mul_hi_u32 s2, s34, s36
	s_mul_i32 s33, s35, s36
	s_wait_alu 0xfffe
	s_add_nc_u64 s[38:39], s[2:3], s[38:39]
	s_mul_hi_u32 s31, s35, s36
	s_mul_hi_u32 s34, s35, s37
	s_wait_alu 0xfffe
	s_add_co_u32 s2, s38, s33
	s_add_co_ci_u32 s2, s39, s31
	s_mul_i32 s36, s35, s37
	s_add_co_ci_u32 s37, s34, 0
	s_wait_alu 0xfffe
	s_add_nc_u64 s[36:37], s[2:3], s[36:37]
	s_wait_alu 0xfffe
	v_add_co_u32 v6, s2, v4, s36
	s_delay_alu instid0(VALU_DEP_1) | instskip(SKIP_1) | instid1(VALU_DEP_1)
	s_cmp_lg_u32 s2, 0
	s_add_co_ci_u32 s2, s35, s37
	v_mul_hi_u32 v10, v11, v6
	s_wait_alu 0xfffe
	v_mad_co_u64_u32 v[4:5], null, v11, s2, 0
	v_mad_co_u64_u32 v[13:14], null, v12, v6, 0
	;; [unrolled: 1-line block ×3, first 2 shown]
	s_delay_alu instid0(VALU_DEP_3) | instskip(SKIP_1) | instid1(VALU_DEP_4)
	v_add_co_u32 v4, vcc_lo, v10, v4
	s_wait_alu 0xfffd
	v_add_co_ci_u32_e32 v5, vcc_lo, 0, v5, vcc_lo
	s_delay_alu instid0(VALU_DEP_2) | instskip(SKIP_1) | instid1(VALU_DEP_2)
	v_add_co_u32 v4, vcc_lo, v4, v13
	s_wait_alu 0xfffd
	v_add_co_ci_u32_e32 v4, vcc_lo, v5, v14, vcc_lo
	s_wait_alu 0xfffd
	v_add_co_ci_u32_e32 v5, vcc_lo, 0, v16, vcc_lo
	s_delay_alu instid0(VALU_DEP_2) | instskip(SKIP_1) | instid1(VALU_DEP_2)
	v_add_co_u32 v10, vcc_lo, v4, v15
	s_wait_alu 0xfffd
	v_add_co_ci_u32_e32 v6, vcc_lo, 0, v5, vcc_lo
	s_delay_alu instid0(VALU_DEP_2) | instskip(SKIP_1) | instid1(VALU_DEP_3)
	v_mul_lo_u32 v13, s29, v10
	v_mad_co_u64_u32 v[4:5], null, s28, v10, 0
	v_mul_lo_u32 v14, s28, v6
	s_delay_alu instid0(VALU_DEP_2) | instskip(NEXT) | instid1(VALU_DEP_2)
	v_sub_co_u32 v4, vcc_lo, v11, v4
	v_add3_u32 v5, v5, v14, v13
	s_delay_alu instid0(VALU_DEP_1) | instskip(SKIP_1) | instid1(VALU_DEP_1)
	v_sub_nc_u32_e32 v13, v12, v5
	s_wait_alu 0xfffd
	v_subrev_co_ci_u32_e64 v13, s2, s29, v13, vcc_lo
	v_add_co_u32 v14, s2, v10, 2
	s_wait_alu 0xf1ff
	v_add_co_ci_u32_e64 v15, s2, 0, v6, s2
	v_sub_co_u32 v16, s2, v4, s28
	v_sub_co_ci_u32_e32 v5, vcc_lo, v12, v5, vcc_lo
	s_wait_alu 0xf1ff
	v_subrev_co_ci_u32_e64 v13, s2, 0, v13, s2
	s_delay_alu instid0(VALU_DEP_3) | instskip(NEXT) | instid1(VALU_DEP_3)
	v_cmp_le_u32_e32 vcc_lo, s28, v16
	v_cmp_eq_u32_e64 s2, s29, v5
	s_wait_alu 0xfffd
	v_cndmask_b32_e64 v16, 0, -1, vcc_lo
	v_cmp_le_u32_e32 vcc_lo, s29, v13
	s_wait_alu 0xfffd
	v_cndmask_b32_e64 v17, 0, -1, vcc_lo
	v_cmp_le_u32_e32 vcc_lo, s28, v4
	;; [unrolled: 3-line block ×3, first 2 shown]
	s_wait_alu 0xfffd
	v_cndmask_b32_e64 v18, 0, -1, vcc_lo
	v_cmp_eq_u32_e32 vcc_lo, s29, v13
	s_wait_alu 0xf1ff
	s_delay_alu instid0(VALU_DEP_2)
	v_cndmask_b32_e64 v4, v18, v4, s2
	s_wait_alu 0xfffd
	v_cndmask_b32_e32 v13, v17, v16, vcc_lo
	v_add_co_u32 v16, vcc_lo, v10, 1
	s_wait_alu 0xfffd
	v_add_co_ci_u32_e32 v17, vcc_lo, 0, v6, vcc_lo
	s_delay_alu instid0(VALU_DEP_3) | instskip(SKIP_1) | instid1(VALU_DEP_2)
	v_cmp_ne_u32_e32 vcc_lo, 0, v13
	s_wait_alu 0xfffd
	v_cndmask_b32_e32 v5, v17, v15, vcc_lo
	v_cndmask_b32_e32 v13, v16, v14, vcc_lo
	v_cmp_ne_u32_e32 vcc_lo, 0, v4
	s_wait_alu 0xfffd
	s_delay_alu instid0(VALU_DEP_3) | instskip(NEXT) | instid1(VALU_DEP_3)
	v_cndmask_b32_e32 v6, v6, v5, vcc_lo
	v_cndmask_b32_e32 v5, v10, v13, vcc_lo
.LBB0_4:                                ;   in Loop: Header=BB0_2 Depth=1
	s_wait_alu 0xfffe
	s_and_not1_saveexec_b32 s2, s30
	s_cbranch_execz .LBB0_6
; %bb.5:                                ;   in Loop: Header=BB0_2 Depth=1
	v_cvt_f32_u32_e32 v4, s28
	s_sub_co_i32 s30, 0, s28
	s_delay_alu instid0(VALU_DEP_1) | instskip(NEXT) | instid1(TRANS32_DEP_1)
	v_rcp_iflag_f32_e32 v4, v4
	v_mul_f32_e32 v4, 0x4f7ffffe, v4
	s_delay_alu instid0(VALU_DEP_1) | instskip(SKIP_1) | instid1(VALU_DEP_1)
	v_cvt_u32_f32_e32 v4, v4
	s_wait_alu 0xfffe
	v_mul_lo_u32 v5, s30, v4
	s_delay_alu instid0(VALU_DEP_1) | instskip(NEXT) | instid1(VALU_DEP_1)
	v_mul_hi_u32 v5, v4, v5
	v_add_nc_u32_e32 v4, v4, v5
	s_delay_alu instid0(VALU_DEP_1) | instskip(NEXT) | instid1(VALU_DEP_1)
	v_mul_hi_u32 v4, v11, v4
	v_mul_lo_u32 v5, v4, s28
	v_add_nc_u32_e32 v6, 1, v4
	s_delay_alu instid0(VALU_DEP_2) | instskip(NEXT) | instid1(VALU_DEP_1)
	v_sub_nc_u32_e32 v5, v11, v5
	v_subrev_nc_u32_e32 v10, s28, v5
	v_cmp_le_u32_e32 vcc_lo, s28, v5
	s_wait_alu 0xfffd
	s_delay_alu instid0(VALU_DEP_2) | instskip(SKIP_1) | instid1(VALU_DEP_2)
	v_cndmask_b32_e32 v5, v5, v10, vcc_lo
	v_cndmask_b32_e32 v4, v4, v6, vcc_lo
	v_cmp_le_u32_e32 vcc_lo, s28, v5
	s_delay_alu instid0(VALU_DEP_2) | instskip(SKIP_1) | instid1(VALU_DEP_1)
	v_add_nc_u32_e32 v6, 1, v4
	s_wait_alu 0xfffd
	v_dual_cndmask_b32 v5, v4, v6 :: v_dual_mov_b32 v6, v9
.LBB0_6:                                ;   in Loop: Header=BB0_2 Depth=1
	s_wait_alu 0xfffe
	s_or_b32 exec_lo, exec_lo, s2
	s_delay_alu instid0(VALU_DEP_1) | instskip(NEXT) | instid1(VALU_DEP_2)
	v_mul_lo_u32 v4, v6, s28
	v_mul_lo_u32 v10, v5, s29
	s_load_b64 s[30:31], s[22:23], 0x0
	v_mad_co_u64_u32 v[13:14], null, v5, s28, 0
	s_load_b64 s[28:29], s[20:21], 0x0
	s_add_nc_u64 s[24:25], s[24:25], 1
	s_add_nc_u64 s[20:21], s[20:21], 8
	s_wait_alu 0xfffe
	v_cmp_ge_u64_e64 s2, s[24:25], s[10:11]
	s_add_nc_u64 s[22:23], s[22:23], 8
	s_add_nc_u64 s[26:27], s[26:27], 8
	v_add3_u32 v4, v14, v10, v4
	v_sub_co_u32 v10, vcc_lo, v11, v13
	s_wait_alu 0xfffd
	s_delay_alu instid0(VALU_DEP_2) | instskip(SKIP_2) | instid1(VALU_DEP_1)
	v_sub_co_ci_u32_e32 v4, vcc_lo, v12, v4, vcc_lo
	s_and_b32 vcc_lo, exec_lo, s2
	s_wait_kmcnt 0x0
	v_mul_lo_u32 v11, s30, v4
	v_mul_lo_u32 v12, s31, v10
	v_mad_co_u64_u32 v[7:8], null, s30, v10, v[7:8]
	v_mul_lo_u32 v4, s28, v4
	v_mul_lo_u32 v13, s29, v10
	v_mad_co_u64_u32 v[1:2], null, s28, v10, v[1:2]
	s_delay_alu instid0(VALU_DEP_4) | instskip(NEXT) | instid1(VALU_DEP_2)
	v_add3_u32 v8, v12, v8, v11
	v_add3_u32 v2, v13, v2, v4
	s_wait_alu 0xfffe
	s_cbranch_vccnz .LBB0_8
; %bb.7:                                ;   in Loop: Header=BB0_2 Depth=1
	v_dual_mov_b32 v12, v6 :: v_dual_mov_b32 v11, v5
	s_branch .LBB0_2
.LBB0_8:
	s_load_b64 s[0:1], s[0:1], 0x28
	v_mul_hi_u32 v20, 0x33333334, v0
	s_lshl_b64 s[10:11], s[10:11], 3
                                        ; implicit-def: $sgpr2
                                        ; implicit-def: $vgpr9
	s_wait_kmcnt 0x0
	v_cmp_gt_u64_e32 vcc_lo, s[0:1], v[5:6]
	v_cmp_le_u64_e64 s0, s[0:1], v[5:6]
	s_delay_alu instid0(VALU_DEP_1)
	s_and_saveexec_b32 s1, s0
	s_wait_alu 0xfffe
	s_xor_b32 s0, exec_lo, s1
; %bb.9:
	v_mul_u32_u24_e32 v4, 5, v20
	s_mov_b32 s2, 0
                                        ; implicit-def: $vgpr20
                                        ; implicit-def: $vgpr7_vgpr8
	s_delay_alu instid0(VALU_DEP_1)
	v_sub_nc_u32_e32 v9, v0, v4
                                        ; implicit-def: $vgpr0
; %bb.10:
	s_wait_alu 0xfffe
	s_or_saveexec_b32 s1, s0
	v_mov_b32_e32 v4, s2
	s_add_nc_u64 s[2:3], s[14:15], s[10:11]
                                        ; implicit-def: $vgpr12
                                        ; implicit-def: $vgpr18
                                        ; implicit-def: $vgpr13
                                        ; implicit-def: $vgpr16
                                        ; implicit-def: $vgpr14
                                        ; implicit-def: $vgpr17
                                        ; implicit-def: $vgpr15
                                        ; implicit-def: $vgpr19
                                        ; implicit-def: $vgpr11
                                        ; implicit-def: $vgpr10
	s_wait_alu 0xfffe
	s_xor_b32 exec_lo, exec_lo, s1
	s_cbranch_execz .LBB0_12
; %bb.11:
	s_add_nc_u64 s[10:11], s[12:13], s[10:11]
	v_mul_u32_u24_e32 v4, 5, v20
	s_load_b64 s[10:11], s[10:11], 0x0
	v_lshlrev_b64_e32 v[7:8], 2, v[7:8]
	s_delay_alu instid0(VALU_DEP_2) | instskip(NEXT) | instid1(VALU_DEP_1)
	v_sub_nc_u32_e32 v9, v0, v4
	v_add_nc_u32_e32 v27, 20, v9
	v_mad_co_u64_u32 v[10:11], null, s18, v9, 0
	v_add_nc_u32_e32 v25, 10, v9
	s_delay_alu instid0(VALU_DEP_3) | instskip(SKIP_1) | instid1(VALU_DEP_4)
	v_mad_co_u64_u32 v[20:21], null, s18, v27, 0
	v_add_nc_u32_e32 v26, 15, v9
	v_mov_b32_e32 v0, v11
	s_delay_alu instid0(VALU_DEP_4) | instskip(NEXT) | instid1(VALU_DEP_3)
	v_mad_co_u64_u32 v[14:15], null, s18, v25, 0
	v_mad_co_u64_u32 v[16:17], null, s18, v26, 0
	v_add_nc_u32_e32 v24, 5, v9
	s_wait_kmcnt 0x0
	v_mul_lo_u32 v11, s11, v5
	v_mul_lo_u32 v28, s10, v6
	v_mad_co_u64_u32 v[18:19], null, s10, v5, 0
	v_mad_co_u64_u32 v[12:13], null, s18, v24, 0
	v_mad_co_u64_u32 v[22:23], null, s19, v9, v[0:1]
	v_mov_b32_e32 v4, v15
	s_delay_alu instid0(VALU_DEP_4) | instskip(NEXT) | instid1(VALU_DEP_4)
	v_add3_u32 v19, v19, v28, v11
	v_dual_mov_b32 v0, v13 :: v_dual_mov_b32 v13, v17
	s_delay_alu instid0(VALU_DEP_4) | instskip(NEXT) | instid1(VALU_DEP_3)
	v_mov_b32_e32 v11, v22
	v_lshlrev_b64_e32 v[18:19], 2, v[18:19]
	v_mov_b32_e32 v17, v21
	s_delay_alu instid0(VALU_DEP_4) | instskip(SKIP_1) | instid1(VALU_DEP_4)
	v_mad_co_u64_u32 v[23:24], null, s19, v24, v[0:1]
	v_mad_co_u64_u32 v[21:22], null, s19, v25, v[4:5]
	v_add_co_u32 v0, s0, s4, v18
	s_wait_alu 0xf1ff
	v_add_co_ci_u32_e64 v4, s0, s5, v19, s0
	v_lshlrev_b64_e32 v[10:11], 2, v[10:11]
	s_delay_alu instid0(VALU_DEP_3)
	v_add_co_u32 v0, s0, v0, v7
	v_mad_co_u64_u32 v[24:25], null, s19, v26, v[13:14]
	v_mov_b32_e32 v13, v23
	s_wait_alu 0xf1ff
	v_add_co_ci_u32_e64 v4, s0, v4, v8, s0
	v_add_co_u32 v7, s0, v0, v10
	v_mov_b32_e32 v15, v21
	s_wait_alu 0xf1ff
	s_delay_alu instid0(VALU_DEP_3) | instskip(SKIP_4) | instid1(VALU_DEP_4)
	v_add_co_ci_u32_e64 v8, s0, v4, v11, s0
	v_lshlrev_b64_e32 v[10:11], 2, v[12:13]
	v_mad_co_u64_u32 v[12:13], null, s19, v27, v[17:18]
	v_lshlrev_b64_e32 v[13:14], 2, v[14:15]
	v_mov_b32_e32 v17, v24
	v_add_co_u32 v18, s0, v0, v10
	s_wait_alu 0xf1ff
	v_add_co_ci_u32_e64 v19, s0, v4, v11, s0
	v_mov_b32_e32 v21, v12
	v_lshlrev_b64_e32 v[10:11], 2, v[16:17]
	v_add_co_u32 v12, s0, v0, v13
	s_wait_alu 0xf1ff
	v_add_co_ci_u32_e64 v13, s0, v4, v14, s0
	v_lshlrev_b64_e32 v[14:15], 2, v[20:21]
	s_delay_alu instid0(VALU_DEP_4) | instskip(SKIP_2) | instid1(VALU_DEP_3)
	v_add_co_u32 v20, s0, v0, v10
	s_wait_alu 0xf1ff
	v_add_co_ci_u32_e64 v21, s0, v4, v11, s0
	v_add_co_u32 v14, s0, v0, v14
	s_wait_alu 0xf1ff
	v_add_co_ci_u32_e64 v15, s0, v4, v15, s0
	v_mov_b32_e32 v4, v9
	s_clause 0x4
	global_load_b32 v10, v[7:8], off
	global_load_b32 v19, v[18:19], off
	;; [unrolled: 1-line block ×5, first 2 shown]
	s_wait_loadcnt 0x4
	v_lshrrev_b32_e32 v11, 16, v10
	s_wait_loadcnt 0x3
	v_lshrrev_b32_e32 v15, 16, v19
	;; [unrolled: 2-line block ×5, first 2 shown]
.LBB0_12:
	s_or_b32 exec_lo, exec_lo, s1
	v_mul_hi_u32 v0, 0xa0a0a0a1, v3
	v_add_f16_e32 v8, v16, v17
	v_add_f16_e32 v7, v19, v10
	v_sub_f16_e32 v20, v15, v12
	v_sub_f16_e32 v21, v14, v13
	;; [unrolled: 1-line block ×3, first 2 shown]
	v_fma_f16 v25, -0.5, v8, v10
	v_sub_f16_e32 v23, v18, v16
	v_lshrrev_b32_e32 v0, 5, v0
	v_add_f16_e32 v24, v18, v19
	v_add_f16_e32 v7, v17, v7
	v_fmamk_f16 v27, v20, 0xbb9c, v25
	v_fmac_f16_e32 v25, 0x3b9c, v20
	v_mul_lo_u32 v0, v0, 51
	v_sub_f16_e32 v8, v17, v19
	v_sub_f16_e32 v26, v16, v18
	v_add_f16_e32 v28, v15, v11
	v_add_f16_e32 v22, v23, v22
	;; [unrolled: 1-line block ×3, first 2 shown]
	v_fmac_f16_e32 v27, 0xb8b4, v21
	v_fmac_f16_e32 v10, -0.5, v24
	v_fmac_f16_e32 v25, 0x38b4, v21
	v_sub_nc_u32_e32 v0, v3, v0
	v_add_f16_e32 v3, v18, v7
	v_fmac_f16_e32 v27, 0x34f2, v22
	v_add_f16_e32 v7, v13, v14
	v_fmac_f16_e32 v25, 0x34f2, v22
	v_fmamk_f16 v22, v21, 0x3b9c, v10
	v_add_f16_e32 v8, v26, v8
	v_add_f16_e32 v23, v14, v28
	v_fmac_f16_e32 v10, 0xbb9c, v21
	v_mul_u32_u24_e32 v0, 25, v0
	v_fma_f16 v24, -0.5, v7, v11
	v_fmac_f16_e32 v22, 0xb8b4, v20
	v_mul_f16_e32 v7, 0x34f2, v8
	v_add_f16_e32 v8, v13, v23
	v_fmac_f16_e32 v10, 0x38b4, v20
	v_lshl_add_u32 v0, v0, 1, 0
	v_add_f16_e32 v21, v12, v15
	v_sub_f16_e32 v23, v12, v13
	v_add_f16_e32 v20, v12, v8
	v_pack_b32_f16 v8, v22, v10
	v_sub_f16_e32 v10, v14, v15
	v_sub_f16_e32 v12, v13, v12
	v_mad_u32_u24 v22, v9, 10, v0
	v_sub_f16_e32 v16, v17, v16
	v_pk_add_f16 v8, v7, v8 op_sel_hi:[0,1]
	v_pack_b32_f16 v7, v3, v27
	v_lshlrev_b32_e32 v3, 3, v9
	v_sub_f16_e32 v17, v15, v14
	v_add_f16_e32 v14, v12, v10
	v_lshl_add_u32 v12, v9, 1, v0
	v_sub_f16_e32 v18, v19, v18
	v_sub_nc_u32_e32 v13, v22, v3
	v_fmac_f16_e32 v11, -0.5, v21
	s_load_b64 s[0:1], s[2:3], 0x0
	ds_store_b64 v22, v[7:8]
	ds_store_b16 v22, v25 offset:8
	global_wb scope:SCOPE_SE
	s_wait_dscnt 0x0
	s_wait_kmcnt 0x0
	s_barrier_signal -1
	s_barrier_wait -1
	global_inv scope:SCOPE_SE
	ds_load_u16 v0, v12
	ds_load_u16 v3, v13 offset:10
	ds_load_u16 v8, v13 offset:20
	;; [unrolled: 1-line block ×4, first 2 shown]
	v_fmamk_f16 v19, v18, 0x3b9c, v24
	v_fmamk_f16 v21, v16, 0xbb9c, v11
	v_fmac_f16_e32 v11, 0x3b9c, v16
	v_add_f16_e32 v17, v23, v17
	v_fmac_f16_e32 v24, 0xbb9c, v18
	v_fmac_f16_e32 v19, 0x38b4, v16
	;; [unrolled: 1-line block ×4, first 2 shown]
	global_wb scope:SCOPE_SE
	s_wait_dscnt 0x0
	v_fmac_f16_e32 v24, 0xb8b4, v16
	v_fmac_f16_e32 v19, 0x34f2, v17
	;; [unrolled: 1-line block ×4, first 2 shown]
	s_barrier_signal -1
	v_fmac_f16_e32 v24, 0x34f2, v17
	v_pack_b32_f16 v14, v20, v19
	s_barrier_wait -1
	v_pack_b32_f16 v15, v21, v11
	global_inv scope:SCOPE_SE
	ds_store_b64 v22, v[14:15]
	ds_store_b16 v22, v24 offset:8
	global_wb scope:SCOPE_SE
	s_wait_dscnt 0x0
	s_barrier_signal -1
	s_barrier_wait -1
	global_inv scope:SCOPE_SE
	s_and_saveexec_b32 s2, vcc_lo
	s_cbranch_execz .LBB0_14
; %bb.13:
	v_dual_mov_b32 v15, 0 :: v_dual_lshlrev_b32 v14, 2, v9
	v_mul_lo_u32 v9, s1, v5
	v_mul_lo_u32 v24, s0, v6
	v_mad_co_u64_u32 v[5:6], null, s0, v5, 0
	s_delay_alu instid0(VALU_DEP_4)
	v_lshlrev_b64_e32 v[14:15], 2, v[14:15]
	v_add_nc_u32_e32 v28, 15, v4
	v_add_nc_u32_e32 v29, 20, v4
	v_lshlrev_b64_e32 v[1:2], 2, v[1:2]
	v_add3_u32 v6, v6, v24, v9
	v_add_co_u32 v14, vcc_lo, s8, v14
	s_wait_alu 0xfffd
	v_add_co_ci_u32_e32 v15, vcc_lo, s9, v15, vcc_lo
	v_mad_co_u64_u32 v[24:25], null, s16, v29, 0
	global_load_b128 v[14:17], v[14:15], off
	ds_load_u16 v30, v13 offset:20
	ds_load_u16 v31, v13 offset:30
	;; [unrolled: 1-line block ×4, first 2 shown]
	ds_load_u16 v34, v12
	v_mad_co_u64_u32 v[11:12], null, s16, v4, 0
	s_delay_alu instid0(VALU_DEP_1) | instskip(NEXT) | instid1(VALU_DEP_1)
	v_dual_mov_b32 v9, v12 :: v_dual_add_nc_u32 v26, 5, v4
	v_mad_co_u64_u32 v[18:19], null, s16, v26, 0
	v_add_nc_u32_e32 v27, 10, v4
	s_delay_alu instid0(VALU_DEP_3) | instskip(SKIP_1) | instid1(VALU_DEP_4)
	v_mad_co_u64_u32 v[12:13], null, s17, v4, v[9:10]
	v_lshlrev_b64_e32 v[4:5], 2, v[5:6]
	v_mov_b32_e32 v6, v19
	s_delay_alu instid0(VALU_DEP_4) | instskip(SKIP_1) | instid1(VALU_DEP_4)
	v_mad_co_u64_u32 v[20:21], null, s16, v27, 0
	v_mov_b32_e32 v19, v25
	v_add_co_u32 v4, vcc_lo, s6, v4
	s_delay_alu instid0(VALU_DEP_4)
	v_mad_co_u64_u32 v[25:26], null, s17, v26, v[6:7]
	s_wait_alu 0xfffd
	v_add_co_ci_u32_e32 v5, vcc_lo, s7, v5, vcc_lo
	v_mov_b32_e32 v9, v21
	v_mad_co_u64_u32 v[22:23], null, s16, v28, 0
	v_add_co_u32 v6, vcc_lo, v4, v1
	s_delay_alu instid0(VALU_DEP_3) | instskip(SKIP_2) | instid1(VALU_DEP_4)
	v_mad_co_u64_u32 v[26:27], null, s17, v27, v[9:10]
	s_wait_alu 0xfffd
	v_add_co_ci_u32_e32 v9, vcc_lo, v5, v2, vcc_lo
	v_mov_b32_e32 v13, v23
	v_lshlrev_b64_e32 v[1:2], 2, v[11:12]
	s_delay_alu instid0(VALU_DEP_4) | instskip(NEXT) | instid1(VALU_DEP_2)
	v_mov_b32_e32 v21, v26
	v_add_co_u32 v1, vcc_lo, v6, v1
	s_delay_alu instid0(VALU_DEP_2) | instskip(SKIP_1) | instid1(VALU_DEP_4)
	v_lshlrev_b64_e32 v[11:12], 2, v[20:21]
	s_wait_alu 0xfffd
	v_add_co_ci_u32_e32 v2, vcc_lo, v9, v2, vcc_lo
	s_wait_loadcnt 0x0
	v_mad_co_u64_u32 v[27:28], null, s17, v28, v[13:14]
	v_mad_co_u64_u32 v[28:29], null, s17, v29, v[19:20]
	v_mov_b32_e32 v19, v25
	v_lshrrev_b32_e32 v13, 16, v14
	s_delay_alu instid0(VALU_DEP_4) | instskip(NEXT) | instid1(VALU_DEP_3)
	v_mov_b32_e32 v23, v27
	v_lshlrev_b64_e32 v[4:5], 2, v[18:19]
	v_mov_b32_e32 v25, v28
	s_delay_alu instid0(VALU_DEP_3) | instskip(SKIP_1) | instid1(VALU_DEP_4)
	v_lshlrev_b64_e32 v[18:19], 2, v[22:23]
	v_lshrrev_b32_e32 v22, 16, v15
	v_add_co_u32 v4, vcc_lo, v6, v4
	s_wait_alu 0xfffd
	v_add_co_ci_u32_e32 v5, vcc_lo, v9, v5, vcc_lo
	v_lshlrev_b64_e32 v[20:21], 2, v[24:25]
	v_add_co_u32 v11, vcc_lo, v6, v11
	s_wait_alu 0xfffd
	v_add_co_ci_u32_e32 v12, vcc_lo, v9, v12, vcc_lo
	v_add_co_u32 v18, vcc_lo, v6, v18
	v_lshrrev_b32_e32 v23, 16, v16
	v_lshrrev_b32_e32 v24, 16, v17
	s_wait_alu 0xfffd
	v_add_co_ci_u32_e32 v19, vcc_lo, v9, v19, vcc_lo
	v_add_co_u32 v20, vcc_lo, v6, v20
	s_wait_alu 0xfffd
	v_add_co_ci_u32_e32 v21, vcc_lo, v9, v21, vcc_lo
	v_mul_f16_e32 v6, v8, v22
	v_mul_f16_e32 v9, v3, v13
	;; [unrolled: 1-line block ×4, first 2 shown]
	s_wait_dscnt 0x4
	v_mul_f16_e32 v22, v30, v22
	s_wait_dscnt 0x3
	v_mul_f16_e32 v23, v31, v23
	;; [unrolled: 2-line block ×3, first 2 shown]
	v_mul_f16_e32 v24, v32, v24
	v_fma_f16 v6, v30, v15, -v6
	v_fma_f16 v9, v33, v14, -v9
	;; [unrolled: 1-line block ×4, first 2 shown]
	v_fmac_f16_e32 v22, v8, v15
	v_fmac_f16_e32 v23, v10, v16
	;; [unrolled: 1-line block ×4, first 2 shown]
	v_sub_f16_e32 v3, v6, v9
	v_sub_f16_e32 v7, v25, v26
	v_add_f16_e32 v10, v9, v26
	v_sub_f16_e32 v15, v9, v6
	v_sub_f16_e32 v16, v26, v25
	v_add_f16_e32 v17, v6, v25
	v_add_f16_e32 v30, v13, v24
	;; [unrolled: 1-line block ×3, first 2 shown]
	s_wait_dscnt 0x0
	v_add_f16_e32 v27, v9, v34
	v_sub_f16_e32 v14, v13, v24
	v_sub_f16_e32 v28, v22, v13
	;; [unrolled: 1-line block ×3, first 2 shown]
	v_add_f16_e32 v13, v0, v13
	v_sub_f16_e32 v29, v23, v24
	v_sub_f16_e32 v9, v9, v26
	v_add_f16_e32 v3, v3, v7
	v_fma_f16 v7, -0.5, v10, v34
	v_add_f16_e32 v10, v15, v16
	v_fma_f16 v15, -0.5, v17, v34
	v_fma_f16 v17, -0.5, v30, v0
	v_fma_f16 v0, -0.5, v35, v0
	v_sub_f16_e32 v8, v22, v23
	v_sub_f16_e32 v31, v6, v25
	v_add_f16_e32 v6, v6, v27
	v_add_f16_e32 v13, v22, v13
	v_sub_f16_e32 v33, v24, v23
	v_add_f16_e32 v16, v28, v29
	v_fmamk_f16 v28, v14, 0xbb9c, v15
	v_fmac_f16_e32 v15, 0x3b9c, v14
	v_fmamk_f16 v29, v9, 0x3b9c, v0
	v_fmac_f16_e32 v0, 0xbb9c, v9
	;; [unrolled: 2-line block ×3, first 2 shown]
	v_add_f16_e32 v6, v25, v6
	v_fmamk_f16 v25, v31, 0xbb9c, v17
	v_fmac_f16_e32 v17, 0x3b9c, v31
	v_add_f16_e32 v13, v13, v23
	v_add_f16_e32 v27, v32, v33
	v_fmac_f16_e32 v15, 0x38b4, v8
	v_fmac_f16_e32 v0, 0xb8b4, v31
	;; [unrolled: 1-line block ×8, first 2 shown]
	v_add_f16_e32 v6, v26, v6
	v_add_f16_e32 v8, v13, v24
	v_fmac_f16_e32 v15, 0x34f2, v10
	v_fmac_f16_e32 v0, 0x34f2, v27
	;; [unrolled: 1-line block ×8, first 2 shown]
	v_pack_b32_f16 v3, v8, v6
	v_pack_b32_f16 v0, v0, v15
	;; [unrolled: 1-line block ×5, first 2 shown]
	s_clause 0x4
	global_store_b32 v[1:2], v3, off
	global_store_b32 v[4:5], v0, off
	;; [unrolled: 1-line block ×5, first 2 shown]
.LBB0_14:
	s_nop 0
	s_sendmsg sendmsg(MSG_DEALLOC_VGPRS)
	s_endpgm
	.section	.rodata,"a",@progbits
	.p2align	6, 0x0
	.amdhsa_kernel fft_rtc_back_len25_factors_5_5_wgs_255_tpt_5_halfLds_half_op_CI_CI_sbrr_dirReg
		.amdhsa_group_segment_fixed_size 0
		.amdhsa_private_segment_fixed_size 0
		.amdhsa_kernarg_size 104
		.amdhsa_user_sgpr_count 2
		.amdhsa_user_sgpr_dispatch_ptr 0
		.amdhsa_user_sgpr_queue_ptr 0
		.amdhsa_user_sgpr_kernarg_segment_ptr 1
		.amdhsa_user_sgpr_dispatch_id 0
		.amdhsa_user_sgpr_private_segment_size 0
		.amdhsa_wavefront_size32 1
		.amdhsa_uses_dynamic_stack 0
		.amdhsa_enable_private_segment 0
		.amdhsa_system_sgpr_workgroup_id_x 1
		.amdhsa_system_sgpr_workgroup_id_y 0
		.amdhsa_system_sgpr_workgroup_id_z 0
		.amdhsa_system_sgpr_workgroup_info 0
		.amdhsa_system_vgpr_workitem_id 0
		.amdhsa_next_free_vgpr 36
		.amdhsa_next_free_sgpr 43
		.amdhsa_reserve_vcc 1
		.amdhsa_float_round_mode_32 0
		.amdhsa_float_round_mode_16_64 0
		.amdhsa_float_denorm_mode_32 3
		.amdhsa_float_denorm_mode_16_64 3
		.amdhsa_fp16_overflow 0
		.amdhsa_workgroup_processor_mode 1
		.amdhsa_memory_ordered 1
		.amdhsa_forward_progress 0
		.amdhsa_round_robin_scheduling 0
		.amdhsa_exception_fp_ieee_invalid_op 0
		.amdhsa_exception_fp_denorm_src 0
		.amdhsa_exception_fp_ieee_div_zero 0
		.amdhsa_exception_fp_ieee_overflow 0
		.amdhsa_exception_fp_ieee_underflow 0
		.amdhsa_exception_fp_ieee_inexact 0
		.amdhsa_exception_int_div_zero 0
	.end_amdhsa_kernel
	.text
.Lfunc_end0:
	.size	fft_rtc_back_len25_factors_5_5_wgs_255_tpt_5_halfLds_half_op_CI_CI_sbrr_dirReg, .Lfunc_end0-fft_rtc_back_len25_factors_5_5_wgs_255_tpt_5_halfLds_half_op_CI_CI_sbrr_dirReg
                                        ; -- End function
	.section	.AMDGPU.csdata,"",@progbits
; Kernel info:
; codeLenInByte = 3484
; NumSgprs: 45
; NumVgprs: 36
; ScratchSize: 0
; MemoryBound: 0
; FloatMode: 240
; IeeeMode: 1
; LDSByteSize: 0 bytes/workgroup (compile time only)
; SGPRBlocks: 5
; VGPRBlocks: 4
; NumSGPRsForWavesPerEU: 45
; NumVGPRsForWavesPerEU: 36
; Occupancy: 16
; WaveLimiterHint : 1
; COMPUTE_PGM_RSRC2:SCRATCH_EN: 0
; COMPUTE_PGM_RSRC2:USER_SGPR: 2
; COMPUTE_PGM_RSRC2:TRAP_HANDLER: 0
; COMPUTE_PGM_RSRC2:TGID_X_EN: 1
; COMPUTE_PGM_RSRC2:TGID_Y_EN: 0
; COMPUTE_PGM_RSRC2:TGID_Z_EN: 0
; COMPUTE_PGM_RSRC2:TIDIG_COMP_CNT: 0
	.text
	.p2alignl 7, 3214868480
	.fill 96, 4, 3214868480
	.type	__hip_cuid_eb7ff2052fc7c02a,@object ; @__hip_cuid_eb7ff2052fc7c02a
	.section	.bss,"aw",@nobits
	.globl	__hip_cuid_eb7ff2052fc7c02a
__hip_cuid_eb7ff2052fc7c02a:
	.byte	0                               ; 0x0
	.size	__hip_cuid_eb7ff2052fc7c02a, 1

	.ident	"AMD clang version 19.0.0git (https://github.com/RadeonOpenCompute/llvm-project roc-6.4.0 25133 c7fe45cf4b819c5991fe208aaa96edf142730f1d)"
	.section	".note.GNU-stack","",@progbits
	.addrsig
	.addrsig_sym __hip_cuid_eb7ff2052fc7c02a
	.amdgpu_metadata
---
amdhsa.kernels:
  - .args:
      - .actual_access:  read_only
        .address_space:  global
        .offset:         0
        .size:           8
        .value_kind:     global_buffer
      - .offset:         8
        .size:           8
        .value_kind:     by_value
      - .actual_access:  read_only
        .address_space:  global
        .offset:         16
        .size:           8
        .value_kind:     global_buffer
      - .actual_access:  read_only
        .address_space:  global
        .offset:         24
        .size:           8
        .value_kind:     global_buffer
      - .actual_access:  read_only
        .address_space:  global
        .offset:         32
        .size:           8
        .value_kind:     global_buffer
      - .offset:         40
        .size:           8
        .value_kind:     by_value
      - .actual_access:  read_only
        .address_space:  global
        .offset:         48
        .size:           8
        .value_kind:     global_buffer
      - .actual_access:  read_only
        .address_space:  global
        .offset:         56
        .size:           8
        .value_kind:     global_buffer
      - .offset:         64
        .size:           4
        .value_kind:     by_value
      - .actual_access:  read_only
        .address_space:  global
        .offset:         72
        .size:           8
        .value_kind:     global_buffer
      - .actual_access:  read_only
        .address_space:  global
        .offset:         80
        .size:           8
        .value_kind:     global_buffer
      - .actual_access:  read_only
        .address_space:  global
        .offset:         88
        .size:           8
        .value_kind:     global_buffer
      - .actual_access:  write_only
        .address_space:  global
        .offset:         96
        .size:           8
        .value_kind:     global_buffer
    .group_segment_fixed_size: 0
    .kernarg_segment_align: 8
    .kernarg_segment_size: 104
    .language:       OpenCL C
    .language_version:
      - 2
      - 0
    .max_flat_workgroup_size: 255
    .name:           fft_rtc_back_len25_factors_5_5_wgs_255_tpt_5_halfLds_half_op_CI_CI_sbrr_dirReg
    .private_segment_fixed_size: 0
    .sgpr_count:     45
    .sgpr_spill_count: 0
    .symbol:         fft_rtc_back_len25_factors_5_5_wgs_255_tpt_5_halfLds_half_op_CI_CI_sbrr_dirReg.kd
    .uniform_work_group_size: 1
    .uses_dynamic_stack: false
    .vgpr_count:     36
    .vgpr_spill_count: 0
    .wavefront_size: 32
    .workgroup_processor_mode: 1
amdhsa.target:   amdgcn-amd-amdhsa--gfx1201
amdhsa.version:
  - 1
  - 2
...

	.end_amdgpu_metadata
